;; amdgpu-corpus repo=zjin-lcf/HeCBench kind=compiled arch=gfx90a opt=O3
	.text
	.amdgcn_target "amdgcn-amd-amdhsa--gfx90a"
	.amdhsa_code_object_version 6
	.section	.text._Z14welford_kernelIfffEvPKT_PT1_S4_iii,"axG",@progbits,_Z14welford_kernelIfffEvPKT_PT1_S4_iii,comdat
	.protected	_Z14welford_kernelIfffEvPKT_PT1_S4_iii ; -- Begin function _Z14welford_kernelIfffEvPKT_PT1_S4_iii
	.globl	_Z14welford_kernelIfffEvPKT_PT1_S4_iii
	.p2align	8
	.type	_Z14welford_kernelIfffEvPKT_PT1_S4_iii,@function
_Z14welford_kernelIfffEvPKT_PT1_S4_iii: ; @_Z14welford_kernelIfffEvPKT_PT1_S4_iii
; %bb.0:
	s_load_dword s0, s[4:5], 0x34
	s_load_dwordx8 s[8:15], s[4:5], 0x8
	v_bfe_u32 v2, v0, 10, 10
	v_mov_b32_e32 v1, 0
	v_and_b32_e32 v4, 0x3ff, v0
	s_waitcnt lgkmcnt(0)
	s_lshr_b32 s15, s0, 16
	s_and_b32 s7, s0, 0xffff
	v_cmp_gt_i32_e32 vcc, s12, v2
	v_mov_b32_e32 v3, 0
	v_mov_b32_e32 v0, v1
	s_and_saveexec_b64 s[2:3], vcc
	s_cbranch_execz .LBB0_8
; %bb.1:
	s_load_dwordx2 s[4:5], s[4:5], 0x0
	v_mul_lo_u32 v0, v2, s13
	v_add_u32_e32 v0, s6, v0
	v_mul_lo_u32 v5, s14, v0
	s_mul_i32 s13, s14, s13
	v_mov_b32_e32 v0, 0
	v_cmp_gt_i32_e64 s[0:1], s14, v4
	s_mul_i32 s13, s13, s15
	s_mov_b64 s[16:17], 0
	v_mov_b32_e32 v3, 0
	v_mov_b32_e32 v1, v0
	;; [unrolled: 1-line block ×3, first 2 shown]
	s_branch .LBB0_3
.LBB0_2:                                ;   in Loop: Header=BB0_3 Depth=1
	s_or_b64 exec, exec, s[18:19]
	v_add_u32_e32 v6, s15, v6
	v_cmp_le_i32_e32 vcc, s12, v6
	s_or_b64 s[16:17], vcc, s[16:17]
	v_add_u32_e32 v5, s13, v5
	s_andn2_b64 exec, exec, s[16:17]
	s_cbranch_execz .LBB0_7
.LBB0_3:                                ; =>This Loop Header: Depth=1
                                        ;     Child Loop BB0_5 Depth 2
	s_and_saveexec_b64 s[18:19], s[0:1]
	s_cbranch_execz .LBB0_2
; %bb.4:                                ;   in Loop: Header=BB0_3 Depth=1
	s_mov_b64 s[20:21], 0
	v_mov_b32_e32 v7, v4
.LBB0_5:                                ;   Parent Loop BB0_3 Depth=1
                                        ; =>  This Inner Loop Header: Depth=2
	v_add_u32_e32 v8, v5, v7
	v_ashrrev_i32_e32 v9, 31, v8
	v_lshlrev_b64 v[8:9], 2, v[8:9]
	s_waitcnt lgkmcnt(0)
	v_mov_b32_e32 v10, s5
	v_add_co_u32_e32 v8, vcc, s4, v8
	v_addc_co_u32_e32 v9, vcc, v10, v9, vcc
	global_load_dword v8, v[8:9], off
	v_add_u32_e32 v3, 1, v3
	v_cvt_f32_i32_e32 v9, v3
	v_add_u32_e32 v7, s7, v7
	v_cmp_le_i32_e32 vcc, s14, v7
	s_or_b64 s[20:21], vcc, s[20:21]
	s_waitcnt vmcnt(0)
	v_sub_f32_e32 v10, v8, v0
	v_div_scale_f32 v11, s[22:23], v9, v9, v10
	v_rcp_f32_e32 v12, v11
	v_div_scale_f32 v13, vcc, v10, v9, v10
	v_fma_f32 v14, -v11, v12, 1.0
	v_fmac_f32_e32 v12, v14, v12
	v_mul_f32_e32 v14, v13, v12
	v_fma_f32 v15, -v11, v14, v13
	v_fmac_f32_e32 v14, v15, v12
	v_fma_f32 v11, -v11, v14, v13
	v_div_fmas_f32 v11, v11, v12, v14
	v_div_fixup_f32 v9, v11, v9, v10
	v_add_f32_e32 v0, v0, v9
	v_sub_f32_e32 v8, v8, v0
	v_fmac_f32_e32 v1, v10, v8
	s_andn2_b64 exec, exec, s[20:21]
	s_cbranch_execnz .LBB0_5
; %bb.6:                                ;   in Loop: Header=BB0_3 Depth=1
	s_or_b64 exec, exec, s[20:21]
	s_branch .LBB0_2
.LBB0_7:
	s_or_b64 exec, exec, s[16:17]
.LBB0_8:
	s_or_b64 exec, exec, s[2:3]
	s_mul_i32 s2, s15, s7
	v_mad_u32_u24 v2, v2, s7, v4
	s_cmpk_lt_i32 s2, 0x41
	v_mbcnt_lo_u32_b32 v4, -1, 0
	s_cbranch_scc1 .LBB0_20
; %bb.9:
	v_mbcnt_hi_u32_b32 v6, -1, v4
	v_and_b32_e32 v7, 63, v6
	v_cmp_gt_u32_e32 vcc, 32, v7
	v_cndmask_b32_e64 v5, 0, 1, vcc
	v_lshlrev_b32_e32 v5, 5, v5
	v_add_lshl_u32 v8, v5, v6, 2
	ds_bpermute_b32 v9, v8, v3
	v_cvt_f32_i32_e32 v10, v3
	ds_bpermute_b32 v12, v8, v0
	ds_bpermute_b32 v8, v8, v1
	v_and_b32_e32 v5, 63, v2
	s_waitcnt lgkmcnt(0)
	v_add_u32_e32 v3, v9, v3
	v_max_i32_e32 v11, 1, v3
	v_cvt_f32_u32_e32 v11, v11
	v_cvt_f32_i32_e32 v9, v9
	v_div_scale_f32 v13, s[0:1], v11, v11, 1.0
	v_rcp_f32_e32 v14, v13
	v_div_scale_f32 v15, vcc, 1.0, v11, 1.0
	v_fma_f32 v16, -v13, v14, 1.0
	v_fmac_f32_e32 v14, v16, v14
	v_mul_f32_e32 v16, v15, v14
	v_fma_f32 v17, -v13, v16, v15
	v_fmac_f32_e32 v16, v17, v14
	v_fma_f32 v13, -v13, v16, v15
	v_div_fmas_f32 v13, v13, v14, v16
	v_div_fixup_f32 v11, v13, v11, 1.0
	v_sub_f32_e32 v13, v0, v12
	v_mul_f32_e32 v12, v9, v12
	v_cmp_gt_u32_e32 vcc, 48, v7
	v_fmac_f32_e32 v12, v0, v10
	v_cndmask_b32_e64 v0, 0, 1, vcc
	v_lshlrev_b32_e32 v0, 4, v0
	v_add_lshl_u32 v0, v0, v6, 2
	ds_bpermute_b32 v14, v0, v3
	v_mul_f32_e32 v13, v13, v13
	v_mul_f32_e32 v9, v13, v9
	;; [unrolled: 1-line block ×4, first 2 shown]
	s_waitcnt lgkmcnt(0)
	v_add_u32_e32 v10, v14, v3
	v_max_i32_e32 v13, 1, v10
	v_cvt_f32_u32_e32 v13, v13
	v_add_f32_e32 v8, v9, v8
	v_mul_f32_e32 v12, v11, v12
	v_add_f32_e32 v1, v1, v8
	v_div_scale_f32 v9, s[0:1], v13, v13, 1.0
	v_rcp_f32_e32 v11, v9
	ds_bpermute_b32 v8, v0, v12
	v_cvt_f32_i32_e32 v3, v3
	ds_bpermute_b32 v0, v0, v1
	v_fma_f32 v15, -v9, v11, 1.0
	v_fmac_f32_e32 v11, v15, v11
	v_div_scale_f32 v15, vcc, 1.0, v13, 1.0
	v_mul_f32_e32 v16, v15, v11
	v_fma_f32 v17, -v9, v16, v15
	v_fmac_f32_e32 v16, v17, v11
	v_fma_f32 v9, -v9, v16, v15
	v_div_fmas_f32 v9, v9, v11, v16
	v_cvt_f32_i32_e32 v11, v14
	v_div_fixup_f32 v9, v9, v13, 1.0
	s_waitcnt lgkmcnt(1)
	v_sub_f32_e32 v13, v12, v8
	v_mul_f32_e32 v12, v12, v3
	v_cmp_gt_u32_e32 vcc, 56, v7
	v_fmac_f32_e32 v12, v11, v8
	v_cndmask_b32_e64 v8, 0, 1, vcc
	v_lshlrev_b32_e32 v8, 3, v8
	v_add_lshl_u32 v8, v8, v6, 2
	ds_bpermute_b32 v14, v8, v10
	v_mul_f32_e32 v13, v13, v13
	v_mul_f32_e32 v11, v13, v11
	v_mul_f32_e32 v3, v11, v3
	v_mul_f32_e32 v3, v9, v3
	s_waitcnt lgkmcnt(0)
	v_add_u32_e32 v11, v14, v10
	v_max_i32_e32 v13, 1, v11
	v_cvt_f32_u32_e32 v13, v13
	v_add_f32_e32 v0, v3, v0
	v_mul_f32_e32 v12, v9, v12
	v_add_f32_e32 v0, v1, v0
	v_div_scale_f32 v3, s[0:1], v13, v13, 1.0
	v_rcp_f32_e32 v9, v3
	ds_bpermute_b32 v1, v8, v12
	ds_bpermute_b32 v8, v8, v0
	v_fma_f32 v15, -v3, v9, 1.0
	v_fmac_f32_e32 v9, v15, v9
	v_div_scale_f32 v15, vcc, 1.0, v13, 1.0
	v_mul_f32_e32 v16, v15, v9
	v_fma_f32 v17, -v3, v16, v15
	v_fmac_f32_e32 v16, v17, v9
	v_fma_f32 v3, -v3, v16, v15
	v_div_fmas_f32 v3, v3, v9, v16
	v_cvt_f32_i32_e32 v9, v10
	v_cvt_f32_i32_e32 v10, v14
	v_div_fixup_f32 v3, v3, v13, 1.0
	s_waitcnt lgkmcnt(1)
	v_sub_f32_e32 v13, v12, v1
	v_mul_f32_e32 v12, v12, v9
	v_cmp_gt_u32_e32 vcc, 60, v7
	v_fmac_f32_e32 v12, v10, v1
	v_cndmask_b32_e64 v1, 0, 1, vcc
	v_lshlrev_b32_e32 v1, 2, v1
	v_add_lshl_u32 v1, v1, v6, 2
	ds_bpermute_b32 v14, v1, v11
	v_mul_f32_e32 v13, v13, v13
	v_mul_f32_e32 v10, v13, v10
	;; [unrolled: 1-line block ×4, first 2 shown]
	s_waitcnt lgkmcnt(0)
	v_add_u32_e32 v10, v14, v11
	v_max_i32_e32 v13, 1, v10
	v_cvt_f32_u32_e32 v13, v13
	v_mul_f32_e32 v3, v3, v9
	v_add_f32_e32 v3, v3, v8
	v_add_f32_e32 v0, v0, v3
	v_div_scale_f32 v8, s[0:1], v13, v13, 1.0
	v_rcp_f32_e32 v9, v8
	ds_bpermute_b32 v3, v1, v12
	ds_bpermute_b32 v1, v1, v0
	v_fma_f32 v15, -v8, v9, 1.0
	v_fmac_f32_e32 v9, v15, v9
	v_div_scale_f32 v15, vcc, 1.0, v13, 1.0
	v_mul_f32_e32 v16, v15, v9
	v_fma_f32 v17, -v8, v16, v15
	v_fmac_f32_e32 v16, v17, v9
	v_fma_f32 v8, -v8, v16, v15
	v_div_fmas_f32 v8, v8, v9, v16
	v_cvt_f32_i32_e32 v9, v11
	v_cvt_f32_i32_e32 v11, v14
	v_div_fixup_f32 v8, v8, v13, 1.0
	s_waitcnt lgkmcnt(1)
	v_sub_f32_e32 v13, v12, v3
	v_mul_f32_e32 v12, v12, v9
	v_cmp_gt_u32_e32 vcc, 62, v7
	v_fmac_f32_e32 v12, v11, v3
	v_cndmask_b32_e64 v3, 0, 1, vcc
	v_lshlrev_b32_e32 v3, 1, v3
	v_add_lshl_u32 v3, v3, v6, 2
	ds_bpermute_b32 v14, v3, v10
	v_mul_f32_e32 v13, v13, v13
	v_mul_f32_e32 v11, v13, v11
	v_mul_f32_e32 v9, v11, v9
	v_mul_f32_e32 v12, v8, v12
	s_waitcnt lgkmcnt(0)
	v_add_u32_e32 v11, v14, v10
	v_max_i32_e32 v13, 1, v11
	v_cvt_f32_u32_e32 v13, v13
	v_mul_f32_e32 v8, v8, v9
	v_add_f32_e32 v1, v8, v1
	v_add_f32_e32 v0, v0, v1
	v_div_scale_f32 v8, s[0:1], v13, v13, 1.0
	v_rcp_f32_e32 v9, v8
	ds_bpermute_b32 v1, v3, v12
	ds_bpermute_b32 v15, v3, v0
	v_fma_f32 v3, -v8, v9, 1.0
	v_fmac_f32_e32 v9, v3, v9
	v_div_scale_f32 v3, vcc, 1.0, v13, 1.0
	v_mul_f32_e32 v16, v3, v9
	v_fma_f32 v17, -v8, v16, v3
	v_fmac_f32_e32 v16, v17, v9
	v_fma_f32 v3, -v8, v16, v3
	v_div_fmas_f32 v3, v3, v9, v16
	v_cmp_ne_u32_e32 vcc, 63, v7
	v_addc_co_u32_e32 v6, vcc, 0, v6, vcc
	v_lshlrev_b32_e32 v7, 2, v6
	v_cvt_f32_i32_e32 v8, v10
	v_div_fixup_f32 v9, v3, v13, 1.0
	ds_bpermute_b32 v13, v7, v11
	v_cvt_f32_i32_e32 v10, v14
	s_waitcnt lgkmcnt(2)
	v_sub_f32_e32 v3, v12, v1
	v_mul_f32_e32 v12, v12, v8
	v_fmac_f32_e32 v12, v10, v1
	v_mul_f32_e32 v1, v3, v3
	s_waitcnt lgkmcnt(0)
	v_add_u32_e32 v3, v13, v11
	v_max_i32_e32 v6, 1, v3
	v_mul_f32_e32 v1, v1, v10
	v_cvt_f32_u32_e32 v10, v6
	v_mul_f32_e32 v1, v1, v8
	v_fmac_f32_e32 v15, v9, v1
	v_add_f32_e32 v1, v0, v15
	v_div_scale_f32 v8, s[0:1], v10, v10, 1.0
	v_rcp_f32_e32 v14, v8
	v_mul_f32_e32 v12, v9, v12
	ds_bpermute_b32 v6, v7, v12
	ds_bpermute_b32 v9, v7, v1
	v_fma_f32 v0, -v8, v14, 1.0
	v_fmac_f32_e32 v14, v0, v14
	v_div_scale_f32 v0, vcc, 1.0, v10, 1.0
	v_mul_f32_e32 v7, v0, v14
	v_fma_f32 v15, -v8, v7, v0
	v_fmac_f32_e32 v7, v15, v14
	v_fma_f32 v0, -v8, v7, v0
	v_div_fmas_f32 v0, v0, v14, v7
	v_cvt_f32_i32_e32 v7, v11
	v_div_fixup_f32 v11, v0, v10, 1.0
	v_cvt_f32_i32_e32 v10, v13
	s_waitcnt lgkmcnt(1)
	v_sub_f32_e32 v0, v12, v6
	v_mul_f32_e32 v0, v0, v0
	v_mul_f32_e32 v8, v12, v7
	;; [unrolled: 1-line block ×4, first 2 shown]
	s_waitcnt lgkmcnt(0)
	v_pk_fma_f32 v[6:7], v[10:11], v[6:7], v[8:9]
	v_mov_b32_e32 v8, v11
	v_mov_b32_e32 v0, v11
	v_pk_add_f32 v[10:11], v[0:1], v[6:7]
	v_pk_mul_f32 v[0:1], v[8:9], v[6:7]
	v_mov_b32_e32 v1, v11
	v_cmp_eq_u32_e32 vcc, 0, v5
	s_and_saveexec_b64 s[0:1], vcc
	s_cbranch_execz .LBB0_11
; %bb.10:
	v_lshrrev_b32_e32 v7, 3, v2
	v_lshrrev_b32_e32 v6, 4, v2
	ds_write2_b32 v7, v0, v1 offset0:64 offset1:65
	ds_write_b32 v6, v3
.LBB0_11:
	s_or_b64 exec, exec, s[0:1]
	v_cmp_lt_u32_e32 vcc, 63, v2
	s_waitcnt lgkmcnt(0)
	s_barrier
	s_and_saveexec_b64 s[0:1], vcc
	s_xor_b64 s[0:1], exec, s[0:1]
; %bb.12:
                                        ; implicit-def: $vgpr5
; %bb.13:
	s_andn2_saveexec_b64 s[0:1], s[0:1]
	s_cbranch_execz .LBB0_19
; %bb.14:
	s_lshr_b32 s2, s2, 6
	v_cmp_gt_u32_e32 vcc, s2, v2
	v_mov_b32_e32 v3, 0
	v_mov_b32_e32 v0, 0
	;; [unrolled: 1-line block ×3, first 2 shown]
	s_and_saveexec_b64 s[2:3], vcc
	s_cbranch_execz .LBB0_16
; %bb.15:
	v_lshlrev_b32_e32 v0, 3, v2
	ds_read_b64 v[0:1], v0 offset:256
.LBB0_16:
	s_or_b64 exec, exec, s[2:3]
	s_and_saveexec_b64 s[2:3], vcc
	s_cbranch_execz .LBB0_18
; %bb.17:
	v_lshlrev_b32_e32 v3, 2, v5
	ds_read_b32 v3, v3
.LBB0_18:
	s_or_b64 exec, exec, s[2:3]
.LBB0_19:
	s_or_b64 exec, exec, s[0:1]
.LBB0_20:
	v_cmp_gt_u32_e32 vcc, 64, v2
	s_and_saveexec_b64 s[0:1], vcc
	s_cbranch_execz .LBB0_22
; %bb.21:
	v_mbcnt_hi_u32_b32 v4, -1, v4
	v_and_b32_e32 v5, 63, v4
	v_cmp_gt_u32_e32 vcc, 32, v5
	v_cndmask_b32_e64 v6, 0, 1, vcc
	v_lshlrev_b32_e32 v6, 5, v6
	v_add_lshl_u32 v6, v6, v4, 2
	s_waitcnt lgkmcnt(0)
	ds_bpermute_b32 v7, v6, v3
	ds_bpermute_b32 v8, v6, v0
	;; [unrolled: 1-line block ×3, first 2 shown]
	s_waitcnt lgkmcnt(2)
	v_add_u32_e32 v9, v7, v3
	v_max_i32_e32 v10, 1, v9
	v_cvt_f32_u32_e32 v10, v10
	v_cvt_f32_i32_e32 v7, v7
	s_waitcnt lgkmcnt(1)
	v_sub_f32_e32 v11, v0, v8
	v_mul_f32_e32 v11, v11, v11
	v_div_scale_f32 v12, s[2:3], v10, v10, 1.0
	v_rcp_f32_e32 v13, v12
	v_div_scale_f32 v14, vcc, 1.0, v10, 1.0
	v_mul_f32_e32 v8, v7, v8
	v_fma_f32 v15, -v12, v13, 1.0
	v_fmac_f32_e32 v13, v15, v13
	v_mul_f32_e32 v15, v14, v13
	v_fma_f32 v16, -v12, v15, v14
	v_fmac_f32_e32 v15, v16, v13
	v_fma_f32 v12, -v12, v15, v14
	v_div_fmas_f32 v12, v12, v13, v15
	v_cmp_gt_u32_e32 vcc, 48, v5
	v_div_fixup_f32 v10, v12, v10, 1.0
	v_cndmask_b32_e64 v12, 0, 1, vcc
	v_lshlrev_b32_e32 v12, 4, v12
	v_add_lshl_u32 v12, v12, v4, 2
	ds_bpermute_b32 v13, v12, v9
	v_mul_f32_e32 v7, v11, v7
	v_cvt_f32_i32_e32 v3, v3
	s_waitcnt lgkmcnt(0)
	v_add_u32_e32 v11, v13, v9
	v_max_i32_e32 v14, 1, v11
	v_cvt_f32_u32_e32 v14, v14
	v_fmac_f32_e32 v8, v0, v3
	v_mul_f32_e32 v3, v7, v3
	v_fmac_f32_e32 v6, v10, v3
	v_div_scale_f32 v3, s[2:3], v14, v14, 1.0
	v_rcp_f32_e32 v7, v3
	v_mul_f32_e32 v0, v10, v8
	v_add_f32_e32 v1, v1, v6
	ds_bpermute_b32 v6, v12, v0
	v_fma_f32 v15, -v3, v7, 1.0
	v_fmac_f32_e32 v7, v15, v7
	v_div_scale_f32 v15, vcc, 1.0, v14, 1.0
	v_mul_f32_e32 v16, v15, v7
	v_fma_f32 v17, -v3, v16, v15
	v_fmac_f32_e32 v16, v17, v7
	v_fma_f32 v3, -v3, v16, v15
	v_div_fmas_f32 v3, v3, v7, v16
	v_cmp_gt_u32_e32 vcc, 56, v5
	s_waitcnt lgkmcnt(0)
	v_fma_f32 v7, v10, v8, -v6
	v_cvt_f32_i32_e32 v8, v9
	v_cndmask_b32_e64 v9, 0, 1, vcc
	v_lshlrev_b32_e32 v9, 3, v9
	v_cvt_f32_i32_e32 v13, v13
	v_add_lshl_u32 v9, v9, v4, 2
	ds_bpermute_b32 v10, v9, v11
	v_div_fixup_f32 v3, v3, v14, 1.0
	v_mul_f32_e32 v6, v13, v6
	v_fmac_f32_e32 v6, v0, v8
	v_mul_f32_e32 v0, v3, v6
	v_mul_f32_e32 v6, v7, v7
	s_waitcnt lgkmcnt(0)
	v_add_u32_e32 v7, v10, v11
	ds_bpermute_b32 v12, v12, v1
	v_mul_f32_e32 v6, v6, v13
	v_max_i32_e32 v13, 1, v7
	v_cvt_f32_u32_e32 v13, v13
	v_mul_f32_e32 v6, v6, v8
	s_waitcnt lgkmcnt(0)
	v_fmac_f32_e32 v12, v3, v6
	v_add_f32_e32 v1, v1, v12
	v_div_scale_f32 v3, s[2:3], v13, v13, 1.0
	v_rcp_f32_e32 v6, v3
	ds_bpermute_b32 v8, v9, v0
	v_cvt_f32_i32_e32 v10, v10
	ds_bpermute_b32 v9, v9, v1
	v_fma_f32 v12, -v3, v6, 1.0
	v_fmac_f32_e32 v6, v12, v6
	v_div_scale_f32 v12, vcc, 1.0, v13, 1.0
	v_mul_f32_e32 v14, v12, v6
	v_fma_f32 v15, -v3, v14, v12
	v_fmac_f32_e32 v14, v15, v6
	v_fma_f32 v3, -v3, v14, v12
	v_div_fmas_f32 v3, v3, v6, v14
	v_cmp_gt_u32_e32 vcc, 60, v5
	v_cndmask_b32_e64 v12, 0, 1, vcc
	v_lshlrev_b32_e32 v12, 2, v12
	v_add_lshl_u32 v12, v12, v4, 2
	v_cvt_f32_i32_e32 v6, v11
	v_div_fixup_f32 v3, v3, v13, 1.0
	ds_bpermute_b32 v13, v12, v7
	s_waitcnt lgkmcnt(2)
	v_sub_f32_e32 v11, v0, v8
	v_mul_f32_e32 v0, v0, v6
	v_mul_f32_e32 v11, v11, v11
	v_fmac_f32_e32 v0, v10, v8
	v_mul_f32_e32 v10, v11, v10
	s_waitcnt lgkmcnt(0)
	v_add_u32_e32 v11, v13, v7
	v_max_i32_e32 v14, 1, v11
	v_cvt_f32_u32_e32 v14, v14
	v_mul_f32_e32 v6, v10, v6
	v_fmac_f32_e32 v9, v3, v6
	v_mul_f32_e32 v8, v3, v0
	v_div_scale_f32 v6, s[2:3], v14, v14, 1.0
	v_rcp_f32_e32 v10, v6
	v_add_f32_e32 v1, v1, v9
	ds_bpermute_b32 v9, v12, v8
	v_cvt_f32_i32_e32 v7, v7
	v_fma_f32 v15, -v6, v10, 1.0
	v_fmac_f32_e32 v10, v15, v10
	v_div_scale_f32 v15, vcc, 1.0, v14, 1.0
	v_mul_f32_e32 v16, v15, v10
	v_fma_f32 v17, -v6, v16, v15
	v_fmac_f32_e32 v16, v17, v10
	v_fma_f32 v6, -v6, v16, v15
	v_div_fmas_f32 v6, v6, v10, v16
	v_cmp_gt_u32_e32 vcc, 62, v5
	v_cndmask_b32_e64 v10, 0, 1, vcc
	v_lshlrev_b32_e32 v10, 1, v10
	v_add_lshl_u32 v10, v10, v4, 2
	s_waitcnt lgkmcnt(0)
	v_fma_f32 v0, v3, v0, -v9
	v_cvt_f32_i32_e32 v3, v13
	ds_bpermute_b32 v13, v10, v11
	v_mul_f32_e32 v8, v8, v7
	v_mul_f32_e32 v0, v0, v0
	v_fmac_f32_e32 v8, v3, v9
	ds_bpermute_b32 v12, v12, v1
	s_waitcnt lgkmcnt(1)
	v_add_u32_e32 v9, v13, v11
	v_mul_f32_e32 v0, v0, v3
	v_max_i32_e32 v3, 1, v9
	v_cvt_f32_u32_e32 v3, v3
	v_div_fixup_f32 v6, v6, v14, 1.0
	v_mul_f32_e32 v0, v0, v7
	s_waitcnt lgkmcnt(0)
	v_fmac_f32_e32 v12, v6, v0
	v_div_scale_f32 v0, s[2:3], v3, v3, 1.0
	v_mul_f32_e32 v8, v6, v8
	v_rcp_f32_e32 v6, v0
	v_add_f32_e32 v1, v1, v12
	ds_bpermute_b32 v7, v10, v8
	ds_bpermute_b32 v10, v10, v1
	v_fma_f32 v12, -v0, v6, 1.0
	v_fmac_f32_e32 v6, v12, v6
	v_div_scale_f32 v12, vcc, 1.0, v3, 1.0
	v_mul_f32_e32 v14, v12, v6
	v_fma_f32 v15, -v0, v14, v12
	v_fmac_f32_e32 v14, v15, v6
	v_fma_f32 v0, -v0, v14, v12
	v_div_fmas_f32 v0, v0, v6, v14
	v_cmp_ne_u32_e32 vcc, 63, v5
	v_addc_co_u32_e32 v4, vcc, 0, v4, vcc
	v_lshlrev_b32_e32 v4, 2, v4
	v_cvt_f32_i32_e32 v6, v11
	v_cvt_f32_i32_e32 v11, v13
	ds_bpermute_b32 v5, v4, v9
	v_div_fixup_f32 v0, v0, v3, 1.0
	s_waitcnt lgkmcnt(2)
	v_sub_f32_e32 v3, v8, v7
	v_mul_f32_e32 v3, v3, v3
	v_mul_f32_e32 v8, v8, v6
	;; [unrolled: 1-line block ×3, first 2 shown]
	v_fmac_f32_e32 v8, v11, v7
	v_mul_f32_e32 v6, v3, v6
	s_waitcnt lgkmcnt(0)
	v_add_u32_e32 v3, v5, v9
	v_mul_f32_e32 v7, v0, v8
	v_max_i32_e32 v8, 1, v3
	v_cvt_f32_u32_e32 v8, v8
	v_mul_f32_e32 v0, v0, v6
	v_add_f32_e32 v0, v0, v10
	v_add_f32_e32 v1, v1, v0
	v_div_scale_f32 v6, s[2:3], v8, v8, 1.0
	v_rcp_f32_e32 v10, v6
	ds_bpermute_b32 v0, v4, v7
	v_cvt_f32_i32_e32 v9, v9
	v_cvt_f32_i32_e32 v5, v5
	v_fma_f32 v11, -v6, v10, 1.0
	v_fmac_f32_e32 v10, v11, v10
	v_div_scale_f32 v11, vcc, 1.0, v8, 1.0
	v_mul_f32_e32 v12, v11, v10
	v_fma_f32 v13, -v6, v12, v11
	v_fmac_f32_e32 v12, v13, v10
	v_fma_f32 v6, -v6, v12, v11
	v_div_fmas_f32 v6, v6, v10, v12
	ds_bpermute_b32 v4, v4, v1
	v_div_fixup_f32 v6, v6, v8, 1.0
	s_waitcnt lgkmcnt(1)
	v_sub_f32_e32 v8, v7, v0
	v_mul_f32_e32 v7, v7, v9
	v_fmac_f32_e32 v7, v5, v0
	v_mul_f32_e32 v0, v6, v7
	v_mul_f32_e32 v7, v8, v8
	v_mul_f32_e32 v5, v7, v5
	v_mul_f32_e32 v5, v5, v9
	s_waitcnt lgkmcnt(0)
	v_fmac_f32_e32 v4, v6, v5
	v_add_f32_e32 v1, v1, v4
.LBB0_22:
	s_or_b64 exec, exec, s[0:1]
	s_mov_b32 s7, 0
	v_cmp_eq_u32_e32 vcc, 0, v2
	s_and_saveexec_b64 s[0:1], vcc
	s_cbranch_execz .LBB0_24
; %bb.23:
	s_waitcnt lgkmcnt(0)
	v_cvt_f32_i32_e32 v2, v3
	s_lshl_b64 s[0:1], s[6:7], 2
	v_mov_b32_e32 v3, 0
	v_div_scale_f32 v4, s[2:3], v2, v2, v1
	v_rcp_f32_e32 v5, v4
	s_add_u32 s2, s8, s0
	s_addc_u32 s3, s9, s1
	s_nop 1
	global_store_dword v3, v0, s[2:3]
	v_fma_f32 v0, -v4, v5, 1.0
	v_fmac_f32_e32 v5, v0, v5
	v_div_scale_f32 v0, vcc, v1, v2, v1
	v_mul_f32_e32 v6, v0, v5
	v_fma_f32 v7, -v4, v6, v0
	v_fmac_f32_e32 v6, v7, v5
	v_fma_f32 v0, -v4, v6, v0
	v_div_fmas_f32 v0, v0, v5, v6
	s_add_u32 s0, s10, s0
	v_div_fixup_f32 v0, v0, v2, v1
	s_addc_u32 s1, s11, s1
	global_store_dword v3, v0, s[0:1]
.LBB0_24:
	s_endpgm
	.section	.rodata,"a",@progbits
	.p2align	6, 0x0
	.amdhsa_kernel _Z14welford_kernelIfffEvPKT_PT1_S4_iii
		.amdhsa_group_segment_fixed_size 640
		.amdhsa_private_segment_fixed_size 0
		.amdhsa_kernarg_size 296
		.amdhsa_user_sgpr_count 6
		.amdhsa_user_sgpr_private_segment_buffer 1
		.amdhsa_user_sgpr_dispatch_ptr 0
		.amdhsa_user_sgpr_queue_ptr 0
		.amdhsa_user_sgpr_kernarg_segment_ptr 1
		.amdhsa_user_sgpr_dispatch_id 0
		.amdhsa_user_sgpr_flat_scratch_init 0
		.amdhsa_user_sgpr_kernarg_preload_length 0
		.amdhsa_user_sgpr_kernarg_preload_offset 0
		.amdhsa_user_sgpr_private_segment_size 0
		.amdhsa_uses_dynamic_stack 0
		.amdhsa_system_sgpr_private_segment_wavefront_offset 0
		.amdhsa_system_sgpr_workgroup_id_x 1
		.amdhsa_system_sgpr_workgroup_id_y 0
		.amdhsa_system_sgpr_workgroup_id_z 0
		.amdhsa_system_sgpr_workgroup_info 0
		.amdhsa_system_vgpr_workitem_id 1
		.amdhsa_next_free_vgpr 18
		.amdhsa_next_free_sgpr 24
		.amdhsa_accum_offset 20
		.amdhsa_reserve_vcc 1
		.amdhsa_reserve_flat_scratch 0
		.amdhsa_float_round_mode_32 0
		.amdhsa_float_round_mode_16_64 0
		.amdhsa_float_denorm_mode_32 3
		.amdhsa_float_denorm_mode_16_64 3
		.amdhsa_dx10_clamp 1
		.amdhsa_ieee_mode 1
		.amdhsa_fp16_overflow 0
		.amdhsa_tg_split 0
		.amdhsa_exception_fp_ieee_invalid_op 0
		.amdhsa_exception_fp_denorm_src 0
		.amdhsa_exception_fp_ieee_div_zero 0
		.amdhsa_exception_fp_ieee_overflow 0
		.amdhsa_exception_fp_ieee_underflow 0
		.amdhsa_exception_fp_ieee_inexact 0
		.amdhsa_exception_int_div_zero 0
	.end_amdhsa_kernel
	.section	.text._Z14welford_kernelIfffEvPKT_PT1_S4_iii,"axG",@progbits,_Z14welford_kernelIfffEvPKT_PT1_S4_iii,comdat
.Lfunc_end0:
	.size	_Z14welford_kernelIfffEvPKT_PT1_S4_iii, .Lfunc_end0-_Z14welford_kernelIfffEvPKT_PT1_S4_iii
                                        ; -- End function
	.section	.AMDGPU.csdata,"",@progbits
; Kernel info:
; codeLenInByte = 2964
; NumSgprs: 28
; NumVgprs: 18
; NumAgprs: 0
; TotalNumVgprs: 18
; ScratchSize: 0
; MemoryBound: 0
; FloatMode: 240
; IeeeMode: 1
; LDSByteSize: 640 bytes/workgroup (compile time only)
; SGPRBlocks: 3
; VGPRBlocks: 2
; NumSGPRsForWavesPerEU: 28
; NumVGPRsForWavesPerEU: 18
; AccumOffset: 20
; Occupancy: 8
; WaveLimiterHint : 0
; COMPUTE_PGM_RSRC2:SCRATCH_EN: 0
; COMPUTE_PGM_RSRC2:USER_SGPR: 6
; COMPUTE_PGM_RSRC2:TRAP_HANDLER: 0
; COMPUTE_PGM_RSRC2:TGID_X_EN: 1
; COMPUTE_PGM_RSRC2:TGID_Y_EN: 0
; COMPUTE_PGM_RSRC2:TGID_Z_EN: 0
; COMPUTE_PGM_RSRC2:TIDIG_COMP_CNT: 1
; COMPUTE_PGM_RSRC3_GFX90A:ACCUM_OFFSET: 4
; COMPUTE_PGM_RSRC3_GFX90A:TG_SPLIT: 0
	.text
	.p2alignl 6, 3212836864
	.fill 256, 4, 3212836864
	.type	__hip_cuid_4c878159f5d9fb3,@object ; @__hip_cuid_4c878159f5d9fb3
	.section	.bss,"aw",@nobits
	.globl	__hip_cuid_4c878159f5d9fb3
__hip_cuid_4c878159f5d9fb3:
	.byte	0                               ; 0x0
	.size	__hip_cuid_4c878159f5d9fb3, 1

	.ident	"AMD clang version 19.0.0git (https://github.com/RadeonOpenCompute/llvm-project roc-6.4.0 25133 c7fe45cf4b819c5991fe208aaa96edf142730f1d)"
	.section	".note.GNU-stack","",@progbits
	.addrsig
	.addrsig_sym __hip_cuid_4c878159f5d9fb3
	.amdgpu_metadata
---
amdhsa.kernels:
  - .agpr_count:     0
    .args:
      - .actual_access:  read_only
        .address_space:  global
        .offset:         0
        .size:           8
        .value_kind:     global_buffer
      - .actual_access:  write_only
        .address_space:  global
        .offset:         8
        .size:           8
        .value_kind:     global_buffer
      - .actual_access:  write_only
        .address_space:  global
        .offset:         16
        .size:           8
        .value_kind:     global_buffer
      - .offset:         24
        .size:           4
        .value_kind:     by_value
      - .offset:         28
        .size:           4
        .value_kind:     by_value
      - .offset:         32
        .size:           4
        .value_kind:     by_value
      - .offset:         40
        .size:           4
        .value_kind:     hidden_block_count_x
      - .offset:         44
        .size:           4
        .value_kind:     hidden_block_count_y
      - .offset:         48
        .size:           4
        .value_kind:     hidden_block_count_z
      - .offset:         52
        .size:           2
        .value_kind:     hidden_group_size_x
      - .offset:         54
        .size:           2
        .value_kind:     hidden_group_size_y
      - .offset:         56
        .size:           2
        .value_kind:     hidden_group_size_z
      - .offset:         58
        .size:           2
        .value_kind:     hidden_remainder_x
      - .offset:         60
        .size:           2
        .value_kind:     hidden_remainder_y
      - .offset:         62
        .size:           2
        .value_kind:     hidden_remainder_z
      - .offset:         80
        .size:           8
        .value_kind:     hidden_global_offset_x
      - .offset:         88
        .size:           8
        .value_kind:     hidden_global_offset_y
      - .offset:         96
        .size:           8
        .value_kind:     hidden_global_offset_z
      - .offset:         104
        .size:           2
        .value_kind:     hidden_grid_dims
    .group_segment_fixed_size: 640
    .kernarg_segment_align: 8
    .kernarg_segment_size: 296
    .language:       OpenCL C
    .language_version:
      - 2
      - 0
    .max_flat_workgroup_size: 1024
    .name:           _Z14welford_kernelIfffEvPKT_PT1_S4_iii
    .private_segment_fixed_size: 0
    .sgpr_count:     28
    .sgpr_spill_count: 0
    .symbol:         _Z14welford_kernelIfffEvPKT_PT1_S4_iii.kd
    .uniform_work_group_size: 1
    .uses_dynamic_stack: false
    .vgpr_count:     18
    .vgpr_spill_count: 0
    .wavefront_size: 64
amdhsa.target:   amdgcn-amd-amdhsa--gfx90a
amdhsa.version:
  - 1
  - 2
...

	.end_amdgpu_metadata
